;; amdgpu-corpus repo=zjin-lcf/HeCBench kind=compiled arch=gfx906 opt=O3
	.amdgcn_target "amdgcn-amd-amdhsa--gfx906"
	.amdhsa_code_object_version 6
	.text
	.protected	_Z17kernel_find_indexPKfS0_S0_S0_PfS1_i ; -- Begin function _Z17kernel_find_indexPKfS0_S0_S0_PfS1_i
	.globl	_Z17kernel_find_indexPKfS0_S0_S0_PfS1_i
	.p2align	8
	.type	_Z17kernel_find_indexPKfS0_S0_S0_PfS1_i,@function
_Z17kernel_find_indexPKfS0_S0_S0_PfS1_i: ; @_Z17kernel_find_indexPKfS0_S0_S0_PfS1_i
; %bb.0:
	s_load_dword s0, s[4:5], 0x44
	s_load_dword s16, s[4:5], 0x30
	s_waitcnt lgkmcnt(0)
	s_and_b32 s0, s0, 0xffff
	s_mul_i32 s6, s6, s0
	v_add_u32_e32 v0, s6, v0
	v_cmp_gt_i32_e32 vcc, s16, v0
	s_and_saveexec_b64 s[0:1], vcc
	s_cbranch_execz .LBB0_9
; %bb.1:
	s_load_dwordx4 s[8:11], s[4:5], 0x0
	s_load_dwordx4 s[0:3], s[4:5], 0x20
	v_ashrrev_i32_e32 v1, 31, v0
	v_lshlrev_b64 v[0:1], 2, v[0:1]
	s_cmp_lt_i32 s16, 1
	s_cbranch_scc1 .LBB0_7
; %bb.2:
	s_load_dwordx4 s[4:7], s[4:5], 0x10
	s_mov_b32 s17, 0
                                        ; implicit-def: $sgpr12_sgpr13
	s_waitcnt lgkmcnt(0)
	v_mov_b32_e32 v3, s7
	v_add_co_u32_e32 v2, vcc, s6, v0
	v_addc_co_u32_e32 v3, vcc, v3, v1, vcc
	global_load_dword v2, v[2:3], off
	s_mov_b64 s[6:7], 0
	s_branch .LBB0_4
.LBB0_3:                                ;   in Loop: Header=BB0_4 Depth=1
	s_or_b64 exec, exec, s[14:15]
	s_and_b64 s[14:15], exec, s[12:13]
	s_or_b64 s[6:7], s[14:15], s[6:7]
	s_andn2_b64 exec, exec, s[6:7]
	s_cbranch_execz .LBB0_6
.LBB0_4:                                ; =>This Inner Loop Header: Depth=1
	s_load_dword s14, s[4:5], 0x0
	v_mov_b32_e32 v3, s17
	s_or_b64 s[12:13], s[12:13], exec
	s_waitcnt vmcnt(0) lgkmcnt(0)
	v_cmp_nge_f32_e32 vcc, s14, v2
	s_and_saveexec_b64 s[14:15], vcc
	s_cbranch_execz .LBB0_3
; %bb.5:                                ;   in Loop: Header=BB0_4 Depth=1
	s_add_i32 s17, s17, 1
	s_add_u32 s4, s4, 4
	s_addc_u32 s5, s5, 0
	s_cmp_eq_u32 s16, s17
	s_cselect_b64 s[18:19], -1, 0
	s_andn2_b64 s[12:13], s[12:13], exec
	s_and_b64 s[18:19], s[18:19], exec
	v_mov_b32_e32 v3, -1
	s_or_b64 s[12:13], s[12:13], s[18:19]
	s_branch .LBB0_3
.LBB0_6:
	s_or_b64 exec, exec, s[6:7]
	s_branch .LBB0_8
.LBB0_7:
	v_mov_b32_e32 v3, -1
.LBB0_8:
	s_add_i32 s4, s16, -1
	v_mov_b32_e32 v2, s4
	v_cmp_eq_u32_e32 vcc, -1, v3
	v_cndmask_b32_e32 v2, v3, v2, vcc
	v_ashrrev_i32_e32 v3, 31, v2
	v_lshlrev_b64 v[2:3], 2, v[2:3]
	s_waitcnt lgkmcnt(0)
	v_mov_b32_e32 v5, s9
	v_add_co_u32_e32 v4, vcc, s8, v2
	v_addc_co_u32_e32 v5, vcc, v5, v3, vcc
	global_load_dword v4, v[4:5], off
	v_mov_b32_e32 v5, s11
	v_add_co_u32_e32 v2, vcc, s10, v2
	v_addc_co_u32_e32 v3, vcc, v5, v3, vcc
	global_load_dword v5, v[2:3], off
	v_mov_b32_e32 v3, s1
	v_add_co_u32_e32 v2, vcc, s0, v0
	v_addc_co_u32_e32 v3, vcc, v3, v1, vcc
	v_mov_b32_e32 v6, s3
	v_add_co_u32_e32 v0, vcc, s2, v0
	v_addc_co_u32_e32 v1, vcc, v6, v1, vcc
	s_waitcnt vmcnt(1)
	global_store_dword v[2:3], v4, off
	s_waitcnt vmcnt(1)
	global_store_dword v[0:1], v5, off
.LBB0_9:
	s_endpgm
	.section	.rodata,"a",@progbits
	.p2align	6, 0x0
	.amdhsa_kernel _Z17kernel_find_indexPKfS0_S0_S0_PfS1_i
		.amdhsa_group_segment_fixed_size 0
		.amdhsa_private_segment_fixed_size 0
		.amdhsa_kernarg_size 312
		.amdhsa_user_sgpr_count 6
		.amdhsa_user_sgpr_private_segment_buffer 1
		.amdhsa_user_sgpr_dispatch_ptr 0
		.amdhsa_user_sgpr_queue_ptr 0
		.amdhsa_user_sgpr_kernarg_segment_ptr 1
		.amdhsa_user_sgpr_dispatch_id 0
		.amdhsa_user_sgpr_flat_scratch_init 0
		.amdhsa_user_sgpr_private_segment_size 0
		.amdhsa_uses_dynamic_stack 0
		.amdhsa_system_sgpr_private_segment_wavefront_offset 0
		.amdhsa_system_sgpr_workgroup_id_x 1
		.amdhsa_system_sgpr_workgroup_id_y 0
		.amdhsa_system_sgpr_workgroup_id_z 0
		.amdhsa_system_sgpr_workgroup_info 0
		.amdhsa_system_vgpr_workitem_id 0
		.amdhsa_next_free_vgpr 7
		.amdhsa_next_free_sgpr 20
		.amdhsa_reserve_vcc 1
		.amdhsa_reserve_flat_scratch 0
		.amdhsa_float_round_mode_32 0
		.amdhsa_float_round_mode_16_64 0
		.amdhsa_float_denorm_mode_32 3
		.amdhsa_float_denorm_mode_16_64 3
		.amdhsa_dx10_clamp 1
		.amdhsa_ieee_mode 1
		.amdhsa_fp16_overflow 0
		.amdhsa_exception_fp_ieee_invalid_op 0
		.amdhsa_exception_fp_denorm_src 0
		.amdhsa_exception_fp_ieee_div_zero 0
		.amdhsa_exception_fp_ieee_overflow 0
		.amdhsa_exception_fp_ieee_underflow 0
		.amdhsa_exception_fp_ieee_inexact 0
		.amdhsa_exception_int_div_zero 0
	.end_amdhsa_kernel
	.text
.Lfunc_end0:
	.size	_Z17kernel_find_indexPKfS0_S0_S0_PfS1_i, .Lfunc_end0-_Z17kernel_find_indexPKfS0_S0_S0_PfS1_i
                                        ; -- End function
	.set _Z17kernel_find_indexPKfS0_S0_S0_PfS1_i.num_vgpr, 7
	.set _Z17kernel_find_indexPKfS0_S0_S0_PfS1_i.num_agpr, 0
	.set _Z17kernel_find_indexPKfS0_S0_S0_PfS1_i.numbered_sgpr, 20
	.set _Z17kernel_find_indexPKfS0_S0_S0_PfS1_i.num_named_barrier, 0
	.set _Z17kernel_find_indexPKfS0_S0_S0_PfS1_i.private_seg_size, 0
	.set _Z17kernel_find_indexPKfS0_S0_S0_PfS1_i.uses_vcc, 1
	.set _Z17kernel_find_indexPKfS0_S0_S0_PfS1_i.uses_flat_scratch, 0
	.set _Z17kernel_find_indexPKfS0_S0_S0_PfS1_i.has_dyn_sized_stack, 0
	.set _Z17kernel_find_indexPKfS0_S0_S0_PfS1_i.has_recursion, 0
	.set _Z17kernel_find_indexPKfS0_S0_S0_PfS1_i.has_indirect_call, 0
	.section	.AMDGPU.csdata,"",@progbits
; Kernel info:
; codeLenInByte = 356
; TotalNumSgprs: 24
; NumVgprs: 7
; ScratchSize: 0
; MemoryBound: 0
; FloatMode: 240
; IeeeMode: 1
; LDSByteSize: 0 bytes/workgroup (compile time only)
; SGPRBlocks: 2
; VGPRBlocks: 1
; NumSGPRsForWavesPerEU: 24
; NumVGPRsForWavesPerEU: 7
; Occupancy: 10
; WaveLimiterHint : 0
; COMPUTE_PGM_RSRC2:SCRATCH_EN: 0
; COMPUTE_PGM_RSRC2:USER_SGPR: 6
; COMPUTE_PGM_RSRC2:TRAP_HANDLER: 0
; COMPUTE_PGM_RSRC2:TGID_X_EN: 1
; COMPUTE_PGM_RSRC2:TGID_Y_EN: 0
; COMPUTE_PGM_RSRC2:TGID_Z_EN: 0
; COMPUTE_PGM_RSRC2:TIDIG_COMP_CNT: 0
	.text
	.protected	_Z17kernel_likelihoodPfS_PKfS1_PiPKiS_PKhS_S2_S_iiiiii ; -- Begin function _Z17kernel_likelihoodPfS_PKfS1_PiPKiS_PKhS_S2_S_iiiiii
	.globl	_Z17kernel_likelihoodPfS_PKfS1_PiPKiS_PKhS_S2_S_iiiiii
	.p2align	8
	.type	_Z17kernel_likelihoodPfS_PKfS1_PiPKiS_PKhS_S2_S_iiiiii,@function
_Z17kernel_likelihoodPfS_PKfS1_PiPKiS_PKhS_S2_S_iiiiii: ; @_Z17kernel_likelihoodPfS_PKfS1_PiPKiS_PKhS_S2_S_iiiiii
; %bb.0:
	s_load_dwordx2 s[28:29], s[4:5], 0x50
	s_load_dwordx2 s[30:31], s[4:5], 0x40
	s_load_dword s0, s[4:5], 0x7c
	s_load_dwordx4 s[24:27], s[4:5], 0x0
	s_load_dwordx2 s[34:35], s[4:5], 0x68
	s_load_dwordx4 s[20:23], s[4:5], 0x58
	s_load_dwordx8 s[12:19], s[4:5], 0x20
	s_waitcnt lgkmcnt(0)
	s_and_b32 s0, s0, 0xffff
	s_mul_i32 s0, s6, s0
	v_add_u32_e32 v1, s0, v0
	v_cmp_gt_i32_e64 s[0:1], s20, v1
	v_ashrrev_i32_e32 v2, 31, v1
	s_and_saveexec_b64 s[36:37], s[0:1]
	s_cbranch_execz .LBB1_10
; %bb.1:
	s_load_dwordx2 s[2:3], s[4:5], 0x48
	s_load_dwordx4 s[8:11], s[4:5], 0x10
	v_lshlrev_b64 v[3:4], 2, v[1:2]
	s_brev_b32 s4, -2
	s_waitcnt lgkmcnt(0)
	v_mov_b32_e32 v6, s3
	v_add_co_u32_e32 v5, vcc, s2, v3
	v_addc_co_u32_e32 v6, vcc, v6, v4, vcc
	global_load_dword v13, v[5:6], off
	v_mov_b32_e32 v7, s9
	v_add_co_u32_e32 v9, vcc, s8, v3
	v_addc_co_u32_e32 v10, vcc, v7, v4, vcc
	v_mov_b32_e32 v8, s11
	v_add_co_u32_e32 v11, vcc, s10, v3
	v_addc_co_u32_e32 v12, vcc, v8, v4, vcc
	global_load_dword v8, v[9:10], off
	global_load_dword v7, v[11:12], off
	v_cvt_f32_i32_e32 v9, s20
	v_div_scale_f32 v10, s[2:3], v9, v9, 1.0
	s_mov_b32 s2, 0x41c64e6d
	v_div_scale_f32 v12, vcc, 1.0, v9, 1.0
	s_mov_b32 s3, 0x40000001
	v_rcp_f32_e32 v14, v10
	s_waitcnt vmcnt(2)
	v_mul_lo_u32 v11, v13, s2
	v_add_u32_e32 v11, 0x3039, v11
	v_mul_hi_i32 v13, v11, s3
	v_lshrrev_b32_e32 v15, 31, v13
	v_ashrrev_i32_e32 v13, 29, v13
	v_add_u32_e32 v13, v13, v15
	v_mul_lo_u32 v13, v13, s4
	v_fma_f32 v15, -v10, v14, 1.0
	v_fmac_f32_e32 v14, v15, v14
	v_mul_f32_e32 v15, v12, v14
	v_sub_u32_e32 v11, v11, v13
	v_mul_lo_u32 v13, v11, s2
	v_fma_f32 v16, -v10, v15, v12
	v_fmac_f32_e32 v15, v16, v14
	v_fma_f32 v10, -v10, v15, v12
	v_div_fmas_f32 v14, v10, v14, v15
	v_add_u32_e32 v12, 0x3039, v13
	v_mul_hi_i32 v13, v12, s3
	s_mov_b32 s2, 0x40c90fdb
	v_lshrrev_b32_e32 v10, 31, v13
	v_ashrrev_i32_e32 v13, 29, v13
	v_add_u32_e32 v10, v13, v10
	v_mul_lo_u32 v10, v10, s4
	v_mov_b32_e32 v13, s31
	v_sub_u32_e32 v10, v12, v10
	v_cvt_f32_i32_e32 v15, v10
	v_add_co_u32_e32 v12, vcc, s30, v3
	v_addc_co_u32_e32 v13, vcc, v13, v4, vcc
	v_div_fixup_f32 v9, v14, v9, 1.0
	global_store_dword v[12:13], v9, off
	v_mul_f32_e32 v9, 0x30000000, v15
	v_mul_f32_e64 v9, |v9|, s2
	s_brev_b32 s2, 18
	v_cmp_ngt_f32_e32 vcc, s2, v9
                                        ; implicit-def: $vgpr13
                                        ; implicit-def: $vgpr12
	s_and_saveexec_b64 s[2:3], vcc
	s_xor_b64 s[10:11], exec, s[2:3]
	s_cbranch_execz .LBB1_3
; %bb.2:
	v_and_b32_e32 v12, 0x7fffff, v9
	v_or_b32_e32 v21, 0x800000, v12
	s_mov_b32 s2, 0xfe5163ab
	v_mad_u64_u32 v[12:13], s[2:3], v21, s2, 0
	v_mov_b32_e32 v14, 0
	s_mov_b32 s2, 0x3c439041
	v_mad_u64_u32 v[15:16], s[2:3], v21, s2, v[13:14]
	s_mov_b32 s2, 0xdb629599
	v_not_b32_e32 v20, 63
	v_mov_b32_e32 v13, v16
	v_mad_u64_u32 v[16:17], s[2:3], v21, s2, v[13:14]
	s_mov_b32 s2, 0xf534ddc0
	v_not_b32_e32 v23, 31
	v_mov_b32_e32 v13, v17
	v_mad_u64_u32 v[17:18], s[2:3], v21, s2, v[13:14]
	v_lshrrev_b32_e32 v13, 23, v9
	v_add_u32_e32 v22, 0xffffff88, v13
	v_mov_b32_e32 v13, v18
	s_mov_b32 s2, 0xfc2757d1
	v_mad_u64_u32 v[18:19], s[2:3], v21, s2, v[13:14]
	v_cmp_lt_u32_e32 vcc, 63, v22
	v_cndmask_b32_e32 v13, 0, v20, vcc
	v_add_u32_e32 v22, v13, v22
	v_mov_b32_e32 v13, v19
	s_mov_b32 s2, 0x4e441529
	v_mad_u64_u32 v[19:20], s[2:3], v21, s2, v[13:14]
	v_cmp_lt_u32_e64 s[2:3], 31, v22
	v_cndmask_b32_e64 v13, 0, v23, s[2:3]
	v_add_u32_e32 v22, v13, v22
	v_mov_b32_e32 v13, v20
	s_mov_b32 s4, 0xa2f9836e
	v_mad_u64_u32 v[13:14], s[4:5], v21, s4, v[13:14]
	v_cmp_lt_u32_e64 s[4:5], 31, v22
	v_cndmask_b32_e64 v20, 0, v23, s[4:5]
	v_cndmask_b32_e32 v21, v19, v17, vcc
	v_cndmask_b32_e32 v13, v13, v18, vcc
	;; [unrolled: 1-line block ×3, first 2 shown]
	v_add_u32_e32 v20, v20, v22
	v_cndmask_b32_e64 v22, v13, v21, s[2:3]
	v_cndmask_b32_e64 v13, v14, v13, s[2:3]
	v_cndmask_b32_e32 v14, v18, v16, vcc
	v_cndmask_b32_e64 v18, v21, v14, s[2:3]
	v_cndmask_b32_e32 v15, v17, v15, vcc
	v_cndmask_b32_e64 v13, v13, v22, s[4:5]
	v_cndmask_b32_e64 v19, v22, v18, s[4:5]
	v_sub_u32_e32 v21, 32, v20
	v_cndmask_b32_e64 v14, v14, v15, s[2:3]
	v_alignbit_b32 v22, v13, v19, v21
	v_cmp_eq_u32_e64 s[8:9], 0, v20
	v_cndmask_b32_e64 v17, v18, v14, s[4:5]
	v_cndmask_b32_e64 v13, v22, v13, s[8:9]
	v_alignbit_b32 v18, v19, v17, v21
	v_cndmask_b32_e32 v12, v16, v12, vcc
	v_cndmask_b32_e64 v18, v18, v19, s[8:9]
	v_bfe_u32 v22, v13, 29, 1
	v_cndmask_b32_e64 v12, v15, v12, s[2:3]
	v_alignbit_b32 v19, v13, v18, 30
	v_sub_u32_e32 v23, 0, v22
	v_cndmask_b32_e64 v12, v14, v12, s[4:5]
	v_xor_b32_e32 v19, v19, v23
	v_alignbit_b32 v14, v17, v12, v21
	v_cndmask_b32_e64 v14, v14, v17, s[8:9]
	v_ffbh_u32_e32 v16, v19
	v_alignbit_b32 v15, v18, v14, 30
	v_min_u32_e32 v16, 32, v16
	v_alignbit_b32 v12, v14, v12, 30
	v_xor_b32_e32 v15, v15, v23
	v_sub_u32_e32 v17, 31, v16
	v_xor_b32_e32 v12, v12, v23
	v_alignbit_b32 v18, v19, v15, v17
	v_alignbit_b32 v12, v15, v12, v17
	v_alignbit_b32 v14, v18, v12, 9
	v_ffbh_u32_e32 v15, v14
	v_min_u32_e32 v15, 32, v15
	v_lshrrev_b32_e32 v20, 29, v13
	v_not_b32_e32 v17, v15
	v_alignbit_b32 v12, v14, v12, v17
	v_lshlrev_b32_e32 v14, 31, v20
	v_or_b32_e32 v17, 0x33000000, v14
	v_add_lshl_u32 v15, v15, v16, 23
	v_lshrrev_b32_e32 v12, 9, v12
	v_sub_u32_e32 v15, v17, v15
	v_or_b32_e32 v14, 0.5, v14
	v_lshlrev_b32_e32 v16, 23, v16
	v_or_b32_e32 v12, v15, v12
	v_lshrrev_b32_e32 v15, 9, v18
	v_sub_u32_e32 v14, v14, v16
	v_or_b32_e32 v14, v15, v14
	s_mov_b32 s2, 0x3fc90fda
	v_mul_f32_e32 v15, 0x3fc90fda, v14
	v_fma_f32 v16, v14, s2, -v15
	v_fmac_f32_e32 v16, 0x33a22168, v14
	v_fmac_f32_e32 v16, 0x3fc90fda, v12
	v_lshrrev_b32_e32 v13, 30, v13
	v_add_f32_e32 v12, v15, v16
	v_add_u32_e32 v13, v22, v13
.LBB1_3:
	s_andn2_saveexec_b64 s[2:3], s[10:11]
	s_cbranch_execz .LBB1_5
; %bb.4:
	v_mul_f32_e32 v12, 0x3f22f983, v9
	v_rndne_f32_e32 v14, v12
	v_mov_b32_e32 v12, v9
	v_cvt_i32_f32_e32 v13, v14
	v_fmac_f32_e32 v12, 0xbfc90fda, v14
	v_fmac_f32_e32 v12, 0xb3a22168, v14
	;; [unrolled: 1-line block ×3, first 2 shown]
.LBB1_5:
	s_or_b64 exec, exec, s[2:3]
	v_cvt_f32_i32_e32 v11, v11
	s_mov_b32 s2, 0x800000
	s_mov_b32 s4, 0x7f800000
	v_mov_b32_e32 v15, s25
	v_mul_f32_e32 v11, 0x30000000, v11
	v_cmp_lt_f32_e64 vcc, |v11|, s2
	v_cndmask_b32_e64 v14, 0, 32, vcc
	v_ldexp_f32 v11, |v11|, v14
	v_log_f32_e32 v11, v11
	s_mov_b32 s2, 0x3f317217
	v_mov_b32_e32 v19, 0xbf000004
	s_brev_b32 s5, -2
	v_mul_f32_e32 v14, 0x3f317217, v11
	v_fma_f32 v14, v11, s2, -v14
	v_fmac_f32_e32 v14, 0x3377d1cf, v11
	v_fmac_f32_e32 v14, 0x3f317217, v11
	v_cmp_lt_f32_e64 s[2:3], |v11|, s4
	v_cndmask_b32_e64 v11, v11, v14, s[2:3]
	v_mov_b32_e32 v14, 0x41b17218
	v_cndmask_b32_e32 v14, 0, v14, vcc
	v_sub_f32_e32 v11, v11, v14
	v_mul_f32_e32 v11, -2.0, v11
	s_mov_b32 s2, 0xf800000
	v_mul_f32_e32 v14, 0x4f800000, v11
	v_cmp_gt_f32_e32 vcc, s2, v11
	v_cndmask_b32_e32 v11, v11, v14, vcc
	v_sqrt_f32_e32 v16, v11
	v_add_co_u32_e64 v14, s[2:3], s24, v3
	v_addc_co_u32_e64 v15, s[2:3], v15, v4, s[2:3]
	v_add_u32_e32 v17, -1, v16
	v_fma_f32 v18, -v17, v16, v11
	v_cmp_ge_f32_e64 s[2:3], 0, v18
	v_add_u32_e32 v18, 1, v16
	v_cndmask_b32_e64 v17, v16, v17, s[2:3]
	v_fma_f32 v16, -v18, v16, v11
	v_cmp_lt_f32_e64 s[2:3], 0, v16
	v_cndmask_b32_e64 v16, v17, v18, s[2:3]
	v_mul_f32_e32 v17, 0x37800000, v16
	v_cndmask_b32_e32 v16, v16, v17, vcc
	v_mov_b32_e32 v17, 0x260
	v_cmp_class_f32_e32 vcc, v11, v17
	v_cndmask_b32_e32 v11, v16, v11, vcc
	v_mul_f32_e32 v16, v12, v12
	v_mov_b32_e32 v17, 0x3c0881c4
	s_mov_b32 s2, 0x41c64e6d
	v_fmac_f32_e32 v17, 0xb94c1982, v16
	v_mov_b32_e32 v18, 0xbe2aaa9d
	v_mul_lo_u32 v10, v10, s2
	v_fmac_f32_e32 v18, v16, v17
	v_mul_f32_e32 v17, v16, v18
	v_fmac_f32_e32 v12, v12, v17
	v_mov_b32_e32 v17, 0xbab64f3b
	v_fmac_f32_e32 v17, 0x37d75334, v16
	v_mov_b32_e32 v18, 0x3d2aabf7
	v_add_u32_e32 v10, 0x3039, v10
	s_mov_b32 s3, 0x40000001
	v_fmac_f32_e32 v18, v16, v17
	v_mul_hi_i32 v17, v10, s3
	v_fmac_f32_e32 v19, v16, v18
	v_fma_f32 v16, v16, v19, 1.0
	v_lshrrev_b32_e32 v18, 31, v17
	v_ashrrev_i32_e32 v17, 29, v17
	v_add_u32_e32 v17, v17, v18
	v_mul_lo_u32 v17, v17, s5
	v_and_b32_e32 v18, 1, v13
	v_cmp_eq_u32_e32 vcc, 0, v18
	v_cndmask_b32_e64 v12, -v12, v16, vcc
	v_sub_u32_e32 v10, v10, v17
	v_mul_lo_u32 v16, v10, s2
	v_lshlrev_b32_e32 v13, 30, v13
	v_and_b32_e32 v13, 0x80000000, v13
	v_xor_b32_e32 v12, v13, v12
	v_add_u32_e32 v13, 0x3039, v16
	v_mul_hi_i32 v16, v13, s3
	v_mov_b32_e32 v17, 0x7fc00000
	v_cmp_lg_f32_e32 vcc, s4, v9
	v_cndmask_b32_e32 v9, v17, v12, vcc
	v_lshrrev_b32_e32 v12, 31, v16
	v_ashrrev_i32_e32 v16, 29, v16
	v_add_u32_e32 v12, v16, v12
	v_mul_lo_u32 v12, v12, s5
	v_mul_f32_e32 v9, v11, v9
	s_mov_b32 s2, 0x40a00000
	v_fma_f32 v9, v9, s2, 1.0
	v_sub_u32_e32 v11, v13, v12
	v_cvt_f32_i32_e32 v12, v11
	s_waitcnt vmcnt(2)
	v_add_f32_e32 v8, v8, v9
	global_store_dword v[14:15], v8, off
	global_store_dword v[5:6], v11, off
	s_mov_b32 s2, 0x40c90fdb
	v_mul_f32_e32 v5, 0x30000000, v12
	v_mul_f32_e64 v5, |v5|, s2
	s_brev_b32 s2, 18
	v_cmp_ngt_f32_e32 vcc, s2, v5
                                        ; implicit-def: $vgpr8
                                        ; implicit-def: $vgpr6
	s_and_saveexec_b64 s[2:3], vcc
	s_xor_b64 s[10:11], exec, s[2:3]
	s_cbranch_execz .LBB1_7
; %bb.6:
	v_and_b32_e32 v6, 0x7fffff, v5
	v_or_b32_e32 v6, 0x800000, v6
	s_mov_b32 s2, 0xfe5163ab
	v_mad_u64_u32 v[8:9], s[2:3], v6, s2, 0
	v_mov_b32_e32 v12, 0
	s_mov_b32 s2, 0x3c439041
	v_mov_b32_e32 v11, v9
	v_mad_u64_u32 v[13:14], s[2:3], v6, s2, v[11:12]
	s_mov_b32 s2, 0xdb629599
	v_lshrrev_b32_e32 v9, 23, v5
	v_mov_b32_e32 v11, v14
	v_mad_u64_u32 v[14:15], s[2:3], v6, s2, v[11:12]
	s_mov_b32 s2, 0xf534ddc0
	v_add_u32_e32 v9, 0xffffff88, v9
	v_mov_b32_e32 v11, v15
	v_mad_u64_u32 v[15:16], s[2:3], v6, s2, v[11:12]
	s_mov_b32 s2, 0xfc2757d1
	v_not_b32_e32 v18, 63
	v_mov_b32_e32 v11, v16
	v_mad_u64_u32 v[16:17], s[2:3], v6, s2, v[11:12]
	v_cmp_lt_u32_e32 vcc, 63, v9
	v_cndmask_b32_e32 v11, 0, v18, vcc
	v_add_u32_e32 v9, v11, v9
	v_mov_b32_e32 v11, v17
	s_mov_b32 s2, 0x4e441529
	v_mad_u64_u32 v[17:18], s[2:3], v6, s2, v[11:12]
	v_not_b32_e32 v19, 31
	v_cmp_lt_u32_e64 s[2:3], 31, v9
	v_cndmask_b32_e64 v11, 0, v19, s[2:3]
	v_add_u32_e32 v9, v11, v9
	v_mov_b32_e32 v11, v18
	s_mov_b32 s4, 0xa2f9836e
	v_mad_u64_u32 v[11:12], s[4:5], v6, s4, v[11:12]
	v_cmp_lt_u32_e64 s[4:5], 31, v9
	v_cndmask_b32_e64 v6, 0, v19, s[4:5]
	v_add_u32_e32 v6, v6, v9
	v_cndmask_b32_e32 v9, v17, v15, vcc
	v_cndmask_b32_e32 v11, v11, v16, vcc
	;; [unrolled: 1-line block ×3, first 2 shown]
	v_cndmask_b32_e64 v18, v11, v9, s[2:3]
	v_cndmask_b32_e64 v11, v12, v11, s[2:3]
	v_cndmask_b32_e32 v12, v16, v14, vcc
	v_cndmask_b32_e64 v9, v9, v12, s[2:3]
	v_sub_u32_e32 v17, 32, v6
	v_cmp_eq_u32_e64 s[8:9], 0, v6
	v_cndmask_b32_e32 v6, v15, v13, vcc
	v_cndmask_b32_e64 v11, v11, v18, s[4:5]
	v_cndmask_b32_e64 v16, v18, v9, s[4:5]
	;; [unrolled: 1-line block ×3, first 2 shown]
	v_alignbit_b32 v18, v11, v16, v17
	v_cndmask_b32_e64 v9, v9, v12, s[4:5]
	v_cndmask_b32_e64 v11, v18, v11, s[8:9]
	v_alignbit_b32 v13, v16, v9, v17
	v_cndmask_b32_e32 v8, v14, v8, vcc
	v_cndmask_b32_e64 v13, v13, v16, s[8:9]
	v_bfe_u32 v18, v11, 29, 1
	v_cndmask_b32_e64 v6, v6, v8, s[2:3]
	v_alignbit_b32 v15, v11, v13, 30
	v_sub_u32_e32 v19, 0, v18
	v_cndmask_b32_e64 v6, v12, v6, s[4:5]
	v_xor_b32_e32 v15, v15, v19
	v_alignbit_b32 v8, v9, v6, v17
	v_cndmask_b32_e64 v8, v8, v9, s[8:9]
	v_ffbh_u32_e32 v12, v15
	v_alignbit_b32 v9, v13, v8, 30
	v_min_u32_e32 v12, 32, v12
	v_alignbit_b32 v6, v8, v6, 30
	v_xor_b32_e32 v9, v9, v19
	v_sub_u32_e32 v13, 31, v12
	v_xor_b32_e32 v6, v6, v19
	v_alignbit_b32 v14, v15, v9, v13
	v_alignbit_b32 v6, v9, v6, v13
	;; [unrolled: 1-line block ×3, first 2 shown]
	v_ffbh_u32_e32 v9, v8
	v_min_u32_e32 v9, 32, v9
	v_lshrrev_b32_e32 v16, 29, v11
	v_not_b32_e32 v13, v9
	v_alignbit_b32 v6, v8, v6, v13
	v_lshlrev_b32_e32 v8, 31, v16
	v_or_b32_e32 v13, 0x33000000, v8
	v_add_lshl_u32 v9, v9, v12, 23
	v_lshrrev_b32_e32 v6, 9, v6
	v_sub_u32_e32 v9, v13, v9
	v_or_b32_e32 v8, 0.5, v8
	v_lshlrev_b32_e32 v12, 23, v12
	v_or_b32_e32 v6, v9, v6
	v_lshrrev_b32_e32 v9, 9, v14
	v_sub_u32_e32 v8, v8, v12
	v_or_b32_e32 v8, v9, v8
	s_mov_b32 s2, 0x3fc90fda
	v_mul_f32_e32 v9, 0x3fc90fda, v8
	v_fma_f32 v12, v8, s2, -v9
	v_fmac_f32_e32 v12, 0x33a22168, v8
	v_fmac_f32_e32 v12, 0x3fc90fda, v6
	v_lshrrev_b32_e32 v8, 30, v11
	v_add_f32_e32 v6, v9, v12
	v_add_u32_e32 v8, v18, v8
.LBB1_7:
	s_andn2_saveexec_b64 s[2:3], s[10:11]
	s_cbranch_execz .LBB1_9
; %bb.8:
	v_mul_f32_e32 v6, 0x3f22f983, v5
	v_rndne_f32_e32 v9, v6
	v_mov_b32_e32 v6, v5
	v_cvt_i32_f32_e32 v8, v9
	v_fmac_f32_e32 v6, 0xbfc90fda, v9
	v_fmac_f32_e32 v6, 0xb3a22168, v9
	;; [unrolled: 1-line block ×3, first 2 shown]
.LBB1_9:
	s_or_b64 exec, exec, s[2:3]
	v_cvt_f32_i32_e32 v9, v10
	s_mov_b32 s2, 0x800000
	s_mov_b32 s4, 0x7f800000
	v_mul_f32_e32 v9, 0x30000000, v9
	v_cmp_lt_f32_e64 vcc, |v9|, s2
	v_cndmask_b32_e64 v10, 0, 32, vcc
	v_ldexp_f32 v9, |v9|, v10
	v_log_f32_e32 v9, v9
	s_mov_b32 s2, 0x3f317217
	v_mov_b32_e32 v10, 0x41b17218
	v_cndmask_b32_e32 v10, 0, v10, vcc
	v_mul_f32_e32 v11, 0x3f317217, v9
	v_fma_f32 v11, v9, s2, -v11
	v_fmac_f32_e32 v11, 0x3377d1cf, v9
	v_fmac_f32_e32 v11, 0x3f317217, v9
	v_cmp_lt_f32_e64 s[2:3], |v9|, s4
	v_cndmask_b32_e64 v9, v9, v11, s[2:3]
	v_sub_f32_e32 v9, v9, v10
	v_mul_f32_e32 v9, -2.0, v9
	s_mov_b32 s2, 0xf800000
	v_mul_f32_e32 v10, 0x4f800000, v9
	v_cmp_gt_f32_e32 vcc, s2, v9
	v_cndmask_b32_e32 v9, v9, v10, vcc
	v_sqrt_f32_e32 v10, v9
	v_add_u32_e32 v11, -1, v10
	v_fma_f32 v12, -v11, v10, v9
	v_cmp_ge_f32_e64 s[2:3], 0, v12
	v_add_u32_e32 v12, 1, v10
	v_cndmask_b32_e64 v11, v10, v11, s[2:3]
	v_fma_f32 v10, -v12, v10, v9
	v_cmp_lt_f32_e64 s[2:3], 0, v10
	v_cndmask_b32_e64 v10, v11, v12, s[2:3]
	v_mul_f32_e32 v11, 0x37800000, v10
	v_cndmask_b32_e32 v10, v10, v11, vcc
	v_mov_b32_e32 v11, 0x260
	v_cmp_class_f32_e32 vcc, v9, v11
	v_cndmask_b32_e32 v9, v10, v9, vcc
	v_mov_b32_e32 v10, s27
	v_add_co_u32_e32 v3, vcc, s26, v3
	v_addc_co_u32_e32 v4, vcc, v10, v4, vcc
	v_mul_f32_e32 v10, v6, v6
	v_mov_b32_e32 v11, 0x3c0881c4
	v_fmac_f32_e32 v11, 0xb94c1982, v10
	v_mov_b32_e32 v12, 0xbe2aaa9d
	v_fmac_f32_e32 v12, v10, v11
	v_mul_f32_e32 v11, v10, v12
	v_fmac_f32_e32 v6, v6, v11
	v_mov_b32_e32 v11, 0xbab64f3b
	v_fmac_f32_e32 v11, 0x37d75334, v10
	v_mov_b32_e32 v12, 0x3d2aabf7
	;; [unrolled: 2-line block ×3, first 2 shown]
	v_fmac_f32_e32 v11, v10, v12
	v_fma_f32 v10, v10, v11, 1.0
	v_and_b32_e32 v11, 1, v8
	v_cmp_eq_u32_e32 vcc, 0, v11
	v_lshlrev_b32_e32 v8, 30, v8
	v_cndmask_b32_e64 v6, -v6, v10, vcc
	v_and_b32_e32 v8, 0x80000000, v8
	v_xor_b32_e32 v6, v8, v6
	v_mov_b32_e32 v8, 0x7fc00000
	v_cmp_lg_f32_e32 vcc, s4, v5
	v_cndmask_b32_e32 v5, v8, v6, vcc
	v_mul_f32_e32 v5, v9, v5
	v_fma_f32 v5, v5, 2.0, -2.0
	s_waitcnt vmcnt(3)
	v_add_f32_e32 v5, v7, v5
	global_store_dword v[3:4], v5, off
.LBB1_10:
	s_or_b64 exec, exec, s[36:37]
	v_mov_b32_e32 v3, 0
	s_waitcnt vmcnt(0)
	s_barrier
	s_and_saveexec_b64 s[2:3], s[0:1]
	s_cbranch_execz .LBB1_19
; %bb.11:
	s_add_u32 s4, s14, 4
	s_addc_u32 s5, s15, 0
	s_cmp_gt_i32 s21, 0
	s_cbranch_scc1 .LBB1_13
; %bb.12:
	v_mov_b32_e32 v5, 0
	s_cbranch_execz .LBB1_14
	s_branch .LBB1_18
.LBB1_13:
	v_mov_b32_e32 v5, 0
.LBB1_14:
	v_lshlrev_b64 v[3:4], 2, v[1:2]
	v_mov_b32_e32 v6, s25
	v_add_co_u32_e32 v5, vcc, s24, v3
	v_addc_co_u32_e32 v6, vcc, v6, v4, vcc
	global_load_dword v5, v[5:6], off
	v_mov_b32_e32 v6, s27
	v_add_co_u32_e32 v3, vcc, s26, v3
	v_addc_co_u32_e32 v4, vcc, v6, v4, vcc
	global_load_dword v6, v[3:4], off
	v_mul_lo_u32 v3, v1, s21
	v_mov_b32_e32 v9, s13
	s_mov_b32 s0, s21
	v_ashrrev_i32_e32 v4, 31, v3
	v_lshlrev_b64 v[3:4], 2, v[3:4]
	v_add_co_u32_e32 v3, vcc, s12, v3
	v_addc_co_u32_e32 v4, vcc, v9, v4, vcc
	s_waitcnt vmcnt(1)
	v_cvt_i32_f32_e32 v7, v5
	s_waitcnt vmcnt(0)
	v_cvt_i32_f32_e32 v8, v6
	v_mov_b32_e32 v6, v4
	v_mov_b32_e32 v5, v3
.LBB1_15:                               ; =>This Inner Loop Header: Depth=1
	s_add_u32 s8, s4, -4
	s_addc_u32 s9, s5, -1
	s_load_dwordx2 s[10:11], s[8:9], 0x0
	s_add_i32 s0, s0, -1
	s_add_u32 s4, s4, 8
	s_addc_u32 s5, s5, 0
	s_cmp_eq_u32 s0, 0
	s_waitcnt lgkmcnt(0)
	v_add_u32_e32 v9, s11, v7
	v_mul_lo_u32 v9, v9, s22
	v_add3_u32 v9, s10, v8, v9
	v_mul_lo_u32 v9, v9, s23
	v_add_u32_e32 v9, s34, v9
	v_sub_u32_e32 v10, 0, v9
	v_max_i32_e32 v9, v9, v10
	v_cmp_gt_i32_e32 vcc, s35, v9
	v_cndmask_b32_e32 v9, 0, v9, vcc
	global_store_dword v[5:6], v9, off
	v_add_co_u32_e32 v5, vcc, 4, v5
	v_addc_co_u32_e32 v6, vcc, 0, v6, vcc
	s_cbranch_scc0 .LBB1_15
; %bb.16:
	v_mov_b32_e32 v5, 0
	v_mov_b32_e32 v6, s19
	v_mov_b32_e32 v7, 0xffff5c00
	s_mov_b32 s0, 0x42480000
	s_mov_b32 s1, s21
.LBB1_17:                               ; =>This Inner Loop Header: Depth=1
	global_load_dword v8, v[3:4], off
	s_add_i32 s1, s1, -1
	s_cmp_eq_u32 s1, 0
	s_waitcnt vmcnt(0)
	v_ashrrev_i32_e32 v9, 31, v8
	v_add_co_u32_e32 v8, vcc, s18, v8
	v_addc_co_u32_e32 v9, vcc, v6, v9, vcc
	global_load_ubyte v8, v[8:9], off
	s_waitcnt vmcnt(0)
	v_lshl_add_u32 v8, v8, 8, v7
	v_cvt_f32_i32_e32 v8, v8
	v_div_scale_f32 v9, s[4:5], s0, s0, v8
	v_div_scale_f32 v10, vcc, v8, s0, v8
	v_rcp_f32_e32 v11, v9
	v_fma_f32 v12, -v9, v11, 1.0
	v_fmac_f32_e32 v11, v12, v11
	v_mul_f32_e32 v12, v10, v11
	v_fma_f32 v13, -v9, v12, v10
	v_fmac_f32_e32 v12, v13, v11
	v_fma_f32 v9, -v9, v12, v10
	v_div_fmas_f32 v9, v9, v11, v12
	v_add_co_u32_e32 v3, vcc, 4, v3
	v_addc_co_u32_e32 v4, vcc, 0, v4, vcc
	v_div_fixup_f32 v8, v9, s0, v8
	v_add_f32_e32 v5, v5, v8
	s_cbranch_scc0 .LBB1_17
.LBB1_18:
	v_lshlrev_b64 v[1:2], 2, v[1:2]
	v_mov_b32_e32 v3, s31
	v_add_co_u32_e32 v6, vcc, s30, v1
	v_addc_co_u32_e32 v7, vcc, v3, v2, vcc
	global_load_dword v3, v[6:7], off
	v_cvt_f32_i32_e32 v4, s21
	v_div_scale_f32 v8, s[0:1], v4, v4, v5
	v_div_scale_f32 v9, vcc, v5, v4, v5
	s_mov_b32 s0, 0x3fb8aa3b
	v_rcp_f32_e32 v10, v8
	v_fma_f32 v11, -v8, v10, 1.0
	v_fmac_f32_e32 v10, v11, v10
	v_mul_f32_e32 v11, v9, v10
	v_fma_f32 v12, -v8, v11, v9
	v_fmac_f32_e32 v11, v12, v10
	v_fma_f32 v8, -v8, v11, v9
	v_div_fmas_f32 v8, v8, v10, v11
	v_add_co_u32_e32 v1, vcc, s16, v1
	v_div_fixup_f32 v4, v8, v4, v5
	v_add_f32_e32 v4, 0xc3960000, v4
	v_mul_f32_e32 v8, 0x3fb8aa3b, v4
	v_fma_f32 v9, v4, s0, -v8
	v_rndne_f32_e32 v10, v8
	v_fmac_f32_e32 v9, 0x32a5705f, v4
	v_sub_f32_e32 v8, v8, v10
	v_add_f32_e32 v8, v8, v9
	v_exp_f32_e32 v8, v8
	v_cvt_i32_f32_e32 v9, v10
	v_mov_b32_e32 v5, s17
	v_addc_co_u32_e32 v2, vcc, v5, v2, vcc
	s_mov_b32 s0, 0xc2ce8ed0
	global_store_dword v[1:2], v4, off
	v_ldexp_f32 v1, v8, v9
	v_cmp_ngt_f32_e32 vcc, s0, v4
	s_mov_b32 s0, 0x42b17218
	v_cndmask_b32_e32 v1, 0, v1, vcc
	v_mov_b32_e32 v2, 0x7f800000
	v_cmp_nlt_f32_e32 vcc, s0, v4
	v_cndmask_b32_e32 v1, v2, v1, vcc
	s_waitcnt vmcnt(1)
	v_mul_f32_e32 v3, v1, v3
	global_store_dword v[6:7], v3, off
.LBB1_19:
	s_or_b64 exec, exec, s[2:3]
	s_movk_i32 s0, 0x80
	v_lshlrev_b32_e32 v1, 2, v0
	v_cmp_gt_u32_e32 vcc, s0, v0
	ds_write_b32 v1, v3
	s_waitcnt vmcnt(0) lgkmcnt(0)
	s_barrier
	s_and_saveexec_b64 s[0:1], vcc
	s_cbranch_execz .LBB1_21
; %bb.20:
	ds_read2st64_b32 v[2:3], v1 offset1:2
	s_waitcnt lgkmcnt(0)
	v_add_f32_e32 v2, v3, v2
	ds_write_b32 v1, v2
.LBB1_21:
	s_or_b64 exec, exec, s[0:1]
	v_cmp_gt_u32_e32 vcc, 64, v0
	s_waitcnt lgkmcnt(0)
	s_barrier
	s_and_saveexec_b64 s[0:1], vcc
	s_cbranch_execz .LBB1_23
; %bb.22:
	ds_read2st64_b32 v[2:3], v1 offset1:1
	s_waitcnt lgkmcnt(0)
	v_add_f32_e32 v2, v3, v2
	ds_write_b32 v1, v2
.LBB1_23:
	s_or_b64 exec, exec, s[0:1]
	v_cmp_gt_u32_e32 vcc, 32, v0
	s_waitcnt lgkmcnt(0)
	s_barrier
	s_and_saveexec_b64 s[0:1], vcc
	s_cbranch_execz .LBB1_25
; %bb.24:
	ds_read2_b32 v[2:3], v1 offset1:32
	s_waitcnt lgkmcnt(0)
	v_add_f32_e32 v2, v3, v2
	ds_write_b32 v1, v2
.LBB1_25:
	s_or_b64 exec, exec, s[0:1]
	v_cmp_gt_u32_e32 vcc, 16, v0
	s_waitcnt lgkmcnt(0)
	s_barrier
	s_and_saveexec_b64 s[0:1], vcc
	s_cbranch_execz .LBB1_27
; %bb.26:
	ds_read2_b32 v[2:3], v1 offset1:16
	s_waitcnt lgkmcnt(0)
	v_add_f32_e32 v2, v3, v2
	ds_write_b32 v1, v2
.LBB1_27:
	;; [unrolled: 12-line block ×5, first 2 shown]
	s_or_b64 exec, exec, s[0:1]
	v_cmp_eq_u32_e32 vcc, 0, v0
	s_waitcnt lgkmcnt(0)
	s_barrier
	s_and_saveexec_b64 s[0:1], vcc
	s_cbranch_execz .LBB1_35
; %bb.34:
	ds_read2_b32 v[2:3], v1 offset1:1
	s_waitcnt lgkmcnt(0)
	v_add_f32_e32 v0, v3, v2
	ds_write_b32 v1, v0
.LBB1_35:
	s_or_b64 exec, exec, s[0:1]
	s_waitcnt lgkmcnt(0)
	s_barrier
	s_and_saveexec_b64 s[0:1], vcc
	s_cbranch_execz .LBB1_37
; %bb.36:
	v_mov_b32_e32 v0, 0
	ds_read_b32 v1, v0
	s_ashr_i32 s7, s6, 31
	s_lshl_b64 s[0:1], s[6:7], 2
	s_add_u32 s0, s28, s0
	s_addc_u32 s1, s29, s1
	s_waitcnt lgkmcnt(0)
	global_store_dword v0, v1, s[0:1]
.LBB1_37:
	s_endpgm
	.section	.rodata,"a",@progbits
	.p2align	6, 0x0
	.amdhsa_kernel _Z17kernel_likelihoodPfS_PKfS1_PiPKiS_PKhS_S2_S_iiiiii
		.amdhsa_group_segment_fixed_size 1024
		.amdhsa_private_segment_fixed_size 0
		.amdhsa_kernarg_size 368
		.amdhsa_user_sgpr_count 6
		.amdhsa_user_sgpr_private_segment_buffer 1
		.amdhsa_user_sgpr_dispatch_ptr 0
		.amdhsa_user_sgpr_queue_ptr 0
		.amdhsa_user_sgpr_kernarg_segment_ptr 1
		.amdhsa_user_sgpr_dispatch_id 0
		.amdhsa_user_sgpr_flat_scratch_init 0
		.amdhsa_user_sgpr_private_segment_size 0
		.amdhsa_uses_dynamic_stack 0
		.amdhsa_system_sgpr_private_segment_wavefront_offset 0
		.amdhsa_system_sgpr_workgroup_id_x 1
		.amdhsa_system_sgpr_workgroup_id_y 0
		.amdhsa_system_sgpr_workgroup_id_z 0
		.amdhsa_system_sgpr_workgroup_info 0
		.amdhsa_system_vgpr_workitem_id 0
		.amdhsa_next_free_vgpr 24
		.amdhsa_next_free_sgpr 38
		.amdhsa_reserve_vcc 1
		.amdhsa_reserve_flat_scratch 0
		.amdhsa_float_round_mode_32 0
		.amdhsa_float_round_mode_16_64 0
		.amdhsa_float_denorm_mode_32 3
		.amdhsa_float_denorm_mode_16_64 3
		.amdhsa_dx10_clamp 1
		.amdhsa_ieee_mode 1
		.amdhsa_fp16_overflow 0
		.amdhsa_exception_fp_ieee_invalid_op 0
		.amdhsa_exception_fp_denorm_src 0
		.amdhsa_exception_fp_ieee_div_zero 0
		.amdhsa_exception_fp_ieee_overflow 0
		.amdhsa_exception_fp_ieee_underflow 0
		.amdhsa_exception_fp_ieee_inexact 0
		.amdhsa_exception_int_div_zero 0
	.end_amdhsa_kernel
	.text
.Lfunc_end1:
	.size	_Z17kernel_likelihoodPfS_PKfS1_PiPKiS_PKhS_S2_S_iiiiii, .Lfunc_end1-_Z17kernel_likelihoodPfS_PKfS1_PiPKiS_PKhS_S2_S_iiiiii
                                        ; -- End function
	.set _Z17kernel_likelihoodPfS_PKfS1_PiPKiS_PKhS_S2_S_iiiiii.num_vgpr, 24
	.set _Z17kernel_likelihoodPfS_PKfS1_PiPKiS_PKhS_S2_S_iiiiii.num_agpr, 0
	.set _Z17kernel_likelihoodPfS_PKfS1_PiPKiS_PKhS_S2_S_iiiiii.numbered_sgpr, 38
	.set _Z17kernel_likelihoodPfS_PKfS1_PiPKiS_PKhS_S2_S_iiiiii.num_named_barrier, 0
	.set _Z17kernel_likelihoodPfS_PKfS1_PiPKiS_PKhS_S2_S_iiiiii.private_seg_size, 0
	.set _Z17kernel_likelihoodPfS_PKfS1_PiPKiS_PKhS_S2_S_iiiiii.uses_vcc, 1
	.set _Z17kernel_likelihoodPfS_PKfS1_PiPKiS_PKhS_S2_S_iiiiii.uses_flat_scratch, 0
	.set _Z17kernel_likelihoodPfS_PKfS1_PiPKiS_PKhS_S2_S_iiiiii.has_dyn_sized_stack, 0
	.set _Z17kernel_likelihoodPfS_PKfS1_PiPKiS_PKhS_S2_S_iiiiii.has_recursion, 0
	.set _Z17kernel_likelihoodPfS_PKfS1_PiPKiS_PKhS_S2_S_iiiiii.has_indirect_call, 0
	.section	.AMDGPU.csdata,"",@progbits
; Kernel info:
; codeLenInByte = 3928
; TotalNumSgprs: 42
; NumVgprs: 24
; ScratchSize: 0
; MemoryBound: 0
; FloatMode: 240
; IeeeMode: 1
; LDSByteSize: 1024 bytes/workgroup (compile time only)
; SGPRBlocks: 5
; VGPRBlocks: 5
; NumSGPRsForWavesPerEU: 42
; NumVGPRsForWavesPerEU: 24
; Occupancy: 10
; WaveLimiterHint : 1
; COMPUTE_PGM_RSRC2:SCRATCH_EN: 0
; COMPUTE_PGM_RSRC2:USER_SGPR: 6
; COMPUTE_PGM_RSRC2:TRAP_HANDLER: 0
; COMPUTE_PGM_RSRC2:TGID_X_EN: 1
; COMPUTE_PGM_RSRC2:TGID_Y_EN: 0
; COMPUTE_PGM_RSRC2:TGID_Z_EN: 0
; COMPUTE_PGM_RSRC2:TIDIG_COMP_CNT: 0
	.text
	.protected	_Z24kernel_normalize_weightsPfPKfS_S_Pii ; -- Begin function _Z24kernel_normalize_weightsPfPKfS_S_Pii
	.globl	_Z24kernel_normalize_weightsPfPKfS_S_Pii
	.p2align	8
	.type	_Z24kernel_normalize_weightsPfPKfS_S_Pii,@function
_Z24kernel_normalize_weightsPfPKfS_S_Pii: ; @_Z24kernel_normalize_weightsPfPKfS_S_Pii
; %bb.0:
	s_load_dwordx2 s[10:11], s[4:5], 0x0
	s_load_dword s7, s[4:5], 0x3c
	v_cmp_eq_u32_e64 s[0:1], 0, v0
	s_and_saveexec_b64 s[2:3], s[0:1]
	s_cbranch_execz .LBB2_2
; %bb.1:
	s_load_dwordx2 s[8:9], s[4:5], 0x8
	v_mov_b32_e32 v1, 0
	s_waitcnt lgkmcnt(0)
	s_load_dword s8, s[8:9], 0x0
	s_waitcnt lgkmcnt(0)
	v_mov_b32_e32 v2, s8
	ds_write_b32 v1, v2
.LBB2_2:
	s_or_b64 exec, exec, s[2:3]
	s_load_dwordx2 s[8:9], s[4:5], 0x18
	s_load_dword s16, s[4:5], 0x28
	s_waitcnt lgkmcnt(0)
	s_and_b32 s2, 0xffff, s7
	s_mul_i32 s6, s6, s2
	v_add_u32_e32 v0, s6, v0
	v_ashrrev_i32_e32 v1, 31, v0
	v_cmp_gt_i32_e64 s[2:3], s16, v0
	s_barrier
	s_and_saveexec_b64 s[6:7], s[2:3]
	s_cbranch_execz .LBB2_4
; %bb.3:
	v_lshlrev_b64 v[2:3], 2, v[0:1]
	v_mov_b32_e32 v4, s11
	v_add_co_u32_e32 v2, vcc, s10, v2
	v_addc_co_u32_e32 v3, vcc, v4, v3, vcc
	global_load_dword v4, v[2:3], off
	v_mov_b32_e32 v5, 0
	ds_read_b32 v5, v5
	s_waitcnt vmcnt(0) lgkmcnt(0)
	v_div_scale_f32 v6, s[12:13], v5, v5, v4
	v_div_scale_f32 v7, vcc, v4, v5, v4
	v_rcp_f32_e32 v8, v6
	v_fma_f32 v9, -v6, v8, 1.0
	v_fmac_f32_e32 v8, v9, v8
	v_mul_f32_e32 v9, v7, v8
	v_fma_f32 v10, -v6, v9, v7
	v_fmac_f32_e32 v9, v10, v8
	v_fma_f32 v6, -v6, v9, v7
	v_div_fmas_f32 v6, v6, v8, v9
	v_div_fixup_f32 v4, v6, v5, v4
	global_store_dword v[2:3], v4, off
.LBB2_4:
	s_or_b64 exec, exec, s[6:7]
	v_cmp_eq_u32_e32 vcc, 0, v0
	s_waitcnt vmcnt(0)
	s_barrier
	s_and_saveexec_b64 s[6:7], vcc
	s_cbranch_execz .LBB2_13
; %bb.5:
	v_mov_b32_e32 v2, 0
	global_load_dword v3, v2, s[10:11]
	s_load_dwordx2 s[14:15], s[4:5], 0x10
	s_load_dwordx2 s[12:13], s[4:5], 0x20
	s_cmp_lt_i32 s16, 2
	s_waitcnt vmcnt(0) lgkmcnt(0)
	global_store_dword v2, v3, s[14:15]
	s_cbranch_scc1 .LBB2_8
; %bb.6:
	s_add_i32 s17, s16, -1
	s_add_u32 s4, s14, 4
	s_addc_u32 s5, s15, 0
	s_add_u32 s10, s10, 4
	s_addc_u32 s11, s11, 0
.LBB2_7:                                ; =>This Inner Loop Header: Depth=1
	global_load_dword v4, v2, s[10:11]
	s_add_i32 s17, s17, -1
	s_waitcnt vmcnt(0)
	v_add_f32_e32 v3, v4, v3
	global_store_dword v2, v3, s[4:5]
	s_add_u32 s4, s4, 4
	s_addc_u32 s5, s5, 0
	s_add_u32 s10, s10, 4
	s_addc_u32 s11, s11, 0
	s_cmp_eq_u32 s17, 0
	s_cbranch_scc0 .LBB2_7
.LBB2_8:
	s_load_dword s4, s[12:13], 0x0
	s_mov_b32 s5, 0x40c90fdb
	s_waitcnt lgkmcnt(0)
	s_mul_i32 s4, s4, 0x41c64e6d
	s_addk_i32 s4, 0x3039
	s_mul_hi_i32 s10, s4, 0x40000001
	s_lshr_b32 s11, s10, 31
	s_ashr_i32 s10, s10, 29
	s_add_i32 s10, s10, s11
	s_mul_i32 s10, s10, 0x7fffffff
	s_sub_i32 s11, s4, s10
	s_mul_i32 s4, s11, 0x41c64e6d
	s_addk_i32 s4, 0x3039
	s_mul_hi_i32 s10, s4, 0x40000001
	s_lshr_b32 s14, s10, 31
	s_ashr_i32 s10, s10, 29
	s_add_i32 s10, s10, s14
	s_mul_i32 s10, s10, 0x7fffffff
	s_sub_i32 s4, s4, s10
	v_cvt_f32_i32_e32 v3, s4
	v_mov_b32_e32 v4, s4
	global_store_dword v2, v4, s[12:13]
	s_brev_b32 s14, 18
	v_mul_f32_e32 v2, 0x30000000, v3
	v_mul_f32_e64 v2, |v2|, s5
	v_cmp_ngt_f32_e32 vcc, s14, v2
	v_readfirstlane_b32 s10, v2
	s_cbranch_vccz .LBB2_10
; %bb.9:
	s_and_b32 s5, s10, 0x7fffff
	s_lshr_b32 s4, s10, 23
	s_bitset1_b32 s5, 23
	s_addk_i32 s4, 0xff88
	s_mul_hi_u32 s12, s5, 0xfe5163ab
	s_mul_i32 s14, s5, 0x3c439041
	s_mul_hi_u32 s13, s5, 0x3c439041
	s_add_u32 s12, s12, s14
	s_addc_u32 s13, 0, s13
	s_mul_i32 s15, s5, 0xdb629599
	s_mul_hi_u32 s14, s5, 0xdb629599
	s_add_u32 s13, s13, s15
	s_addc_u32 s14, 0, s14
	s_mul_i32 s17, s5, 0xf534ddc0
	s_mul_hi_u32 s15, s5, 0xf534ddc0
	s_add_u32 s14, s14, s17
	s_addc_u32 s15, 0, s15
	s_mul_i32 s18, s5, 0xfc2757d1
	s_mul_hi_u32 s17, s5, 0xfc2757d1
	s_add_u32 s15, s15, s18
	s_addc_u32 s17, 0, s17
	s_mul_i32 s19, s5, 0x4e441529
	s_mul_hi_u32 s18, s5, 0x4e441529
	s_add_u32 s17, s17, s19
	s_addc_u32 s18, 0, s18
	s_cmp_gt_u32 s4, 63
	s_mul_i32 s19, s5, 0xfe5163ab
	s_mul_hi_u32 s20, s5, 0xa2f9836e
	s_mul_i32 s5, s5, 0xa2f9836e
	s_cselect_b32 s21, s13, s15
	s_cselect_b32 s12, s12, s14
	;; [unrolled: 1-line block ×3, first 2 shown]
	s_add_u32 s5, s18, s5
	s_addc_u32 s18, 0, s20
	s_cmp_gt_u32 s4, 63
	s_cselect_b32 s19, 0xffffffc0, 0
	s_cselect_b32 s14, s14, s17
	;; [unrolled: 1-line block ×4, first 2 shown]
	s_add_i32 s19, s19, s4
	s_cmp_gt_u32 s19, 31
	s_cselect_b32 s4, 0xffffffe0, 0
	s_cselect_b32 s17, s14, s5
	;; [unrolled: 1-line block ×6, first 2 shown]
	s_add_i32 s4, s4, s19
	s_cmp_gt_u32 s4, 31
	s_cselect_b32 s13, 0xffffffe0, 0
	s_cselect_b32 s5, s17, s5
	;; [unrolled: 1-line block ×5, first 2 shown]
	s_add_i32 s13, s13, s4
	s_sub_i32 s4, 32, s13
	s_cmp_eq_u32 s13, 0
	v_mov_b32_e32 v2, s17
	v_mov_b32_e32 v3, s4
	v_alignbit_b32 v4, s5, v2, v3
	v_mov_b32_e32 v5, s5
	s_cselect_b64 vcc, -1, 0
	v_cndmask_b32_e32 v4, v4, v5, vcc
	v_mov_b32_e32 v5, s14
	v_alignbit_b32 v6, s17, v5, v3
	v_mov_b32_e32 v7, s12
	v_cndmask_b32_e32 v2, v6, v2, vcc
	v_alignbit_b32 v3, s14, v7, v3
	v_bfe_u32 v7, v4, 29, 1
	v_alignbit_b32 v6, v4, v2, 30
	v_sub_u32_e32 v8, 0, v7
	v_xor_b32_e32 v6, v6, v8
	v_cndmask_b32_e32 v3, v3, v5, vcc
	v_ffbh_u32_e32 v9, v6
	v_alignbit_b32 v2, v2, v3, 30
	v_min_u32_e32 v9, 32, v9
	v_alignbit_b32 v3, v3, s12, 30
	v_xor_b32_e32 v2, v2, v8
	v_sub_u32_e32 v10, 31, v9
	v_xor_b32_e32 v3, v3, v8
	v_alignbit_b32 v6, v6, v2, v10
	v_alignbit_b32 v2, v2, v3, v10
	;; [unrolled: 1-line block ×3, first 2 shown]
	v_ffbh_u32_e32 v8, v3
	v_min_u32_e32 v8, 32, v8
	v_lshrrev_b32_e32 v5, 29, v4
	v_not_b32_e32 v10, v8
	v_alignbit_b32 v2, v3, v2, v10
	v_add_u32_e32 v3, v8, v9
	v_lshlrev_b32_e32 v5, 31, v5
	v_or_b32_e32 v8, 0x33000000, v5
	v_lshlrev_b32_e32 v3, 23, v3
	v_lshrrev_b32_e32 v2, 9, v2
	v_sub_u32_e32 v3, v8, v3
	v_or_b32_e32 v2, v3, v2
	v_lshrrev_b32_e32 v3, 9, v6
	v_or_b32_e32 v5, 0.5, v5
	v_lshlrev_b32_e32 v6, 23, v9
	v_sub_u32_e32 v5, v5, v6
	v_or_b32_e32 v3, v3, v5
	s_mov_b32 s4, 0x3fc90fda
	v_mul_f32_e32 v5, 0x3fc90fda, v3
	v_fma_f32 v6, v3, s4, -v5
	v_fmac_f32_e32 v6, 0x33a22168, v3
	v_fmac_f32_e32 v6, 0x3fc90fda, v2
	v_lshrrev_b32_e32 v3, 30, v4
	v_add_f32_e32 v2, v5, v6
	v_add_u32_e32 v3, v7, v3
	s_cbranch_execz .LBB2_11
	s_branch .LBB2_12
.LBB2_10:
                                        ; implicit-def: $vgpr3
                                        ; implicit-def: $vgpr2
.LBB2_11:
	v_mov_b32_e32 v2, 0x3f22f983
	v_mul_f32_e32 v2, s10, v2
	v_rndne_f32_e32 v4, v2
	v_mov_b32_e32 v2, s10
	v_cvt_i32_f32_e32 v3, v4
	v_fmac_f32_e32 v2, 0xbfc90fda, v4
	v_fmac_f32_e32 v2, 0xb3a22168, v4
	;; [unrolled: 1-line block ×3, first 2 shown]
.LBB2_12:
	v_cvt_f32_i32_e32 v4, s16
	v_cvt_f32_i32_e32 v5, s11
	v_mov_b32_e32 v7, 0x41b17218
	v_div_scale_f32 v6, s[4:5], v4, v4, 1.0
	v_div_scale_f32 v8, vcc, 1.0, v4, 1.0
	s_mov_b32 s4, 0x800000
	v_mul_f32_e32 v5, 0x30000000, v5
	v_cmp_lt_f32_e64 s[4:5], |v5|, s4
	v_cndmask_b32_e64 v7, 0, v7, s[4:5]
	s_and_b64 s[4:5], s[4:5], exec
	s_cselect_b32 s4, 32, 0
	v_ldexp_f32 v5, |v5|, s4
	v_log_f32_e32 v5, v5
	s_mov_b32 s4, 0x3f317217
	s_mov_b32 s5, 0x7f800000
	v_mul_f32_e32 v9, 0x3f317217, v5
	v_rcp_f32_e32 v10, v6
	v_fma_f32 v9, v5, s4, -v9
	v_fmac_f32_e32 v9, 0x3377d1cf, v5
	v_fmac_f32_e32 v9, 0x3f317217, v5
	v_fma_f32 v11, -v6, v10, 1.0
	v_fmac_f32_e32 v10, v11, v10
	v_mul_f32_e32 v11, v8, v10
	v_fma_f32 v12, -v6, v11, v8
	v_fmac_f32_e32 v11, v12, v10
	v_fma_f32 v6, -v6, v11, v8
	v_div_fmas_f32 v6, v6, v10, v11
	v_cmp_lt_f32_e64 vcc, |v5|, s5
	v_cndmask_b32_e32 v5, v5, v9, vcc
	v_sub_f32_e32 v5, v5, v7
	v_mul_f32_e32 v5, -2.0, v5
	s_mov_b32 s4, 0xf800000
	v_mul_f32_e32 v7, 0x4f800000, v5
	v_cmp_gt_f32_e32 vcc, s4, v5
	v_cndmask_b32_e32 v5, v5, v7, vcc
	v_sqrt_f32_e32 v7, v5
	v_add_u32_e32 v8, -1, v7
	v_add_u32_e32 v9, 1, v7
	v_fma_f32 v10, -v8, v7, v5
	v_fma_f32 v11, -v9, v7, v5
	v_cmp_ge_f32_e64 s[4:5], 0, v10
	v_cndmask_b32_e64 v7, v7, v8, s[4:5]
	v_cmp_lt_f32_e64 s[4:5], 0, v11
	v_div_fixup_f32 v4, v6, v4, 1.0
	v_cndmask_b32_e64 v6, v7, v9, s[4:5]
	v_mul_f32_e32 v7, 0x37800000, v6
	v_cndmask_b32_e32 v6, v6, v7, vcc
	v_mov_b32_e32 v7, 0x260
	v_cmp_class_f32_e32 vcc, v5, v7
	v_cndmask_b32_e32 v5, v6, v5, vcc
	v_mul_f32_e32 v6, v2, v2
	v_mov_b32_e32 v7, 0x3c0881c4
	v_fmac_f32_e32 v7, 0xb94c1982, v6
	v_mov_b32_e32 v8, 0xbe2aaa9d
	v_fmac_f32_e32 v8, v6, v7
	v_mul_f32_e32 v7, v6, v8
	v_fmac_f32_e32 v2, v2, v7
	v_mov_b32_e32 v7, 0xbab64f3b
	v_fmac_f32_e32 v7, 0x37d75334, v6
	v_mov_b32_e32 v8, 0x3d2aabf7
	;; [unrolled: 2-line block ×3, first 2 shown]
	v_fmac_f32_e32 v7, v6, v8
	v_fma_f32 v6, v6, v7, 1.0
	v_and_b32_e32 v7, 1, v3
	v_cmp_eq_u32_e32 vcc, 0, v7
	v_lshlrev_b32_e32 v3, 30, v3
	v_cndmask_b32_e64 v2, -v2, v6, vcc
	v_and_b32_e32 v3, 0x80000000, v3
	v_xor_b32_e32 v2, v3, v2
	v_mov_b32_e32 v3, 0x7f800000
	v_mov_b32_e32 v6, 0x7fc00000
	v_cmp_lg_f32_e32 vcc, s10, v3
	v_cndmask_b32_e32 v2, v6, v2, vcc
	v_mul_f32_e32 v2, v5, v2
	v_mul_f32_e32 v2, v4, v2
	v_mov_b32_e32 v3, 0
	global_store_dword v3, v2, s[8:9]
.LBB2_13:
	s_or_b64 exec, exec, s[6:7]
	s_waitcnt vmcnt(0)
	s_barrier
	s_and_saveexec_b64 s[4:5], s[0:1]
	s_cbranch_execz .LBB2_15
; %bb.14:
	v_mov_b32_e32 v2, 0
	global_load_dword v3, v2, s[8:9]
	s_waitcnt vmcnt(0)
	ds_write_b32 v2, v3 offset:4
.LBB2_15:
	s_or_b64 exec, exec, s[4:5]
	s_waitcnt lgkmcnt(0)
	s_barrier
	s_and_saveexec_b64 s[0:1], s[2:3]
	s_cbranch_execz .LBB2_17
; %bb.16:
	v_cvt_f32_i32_e32 v2, v0
	v_cvt_f32_i32_e32 v3, s16
	v_lshlrev_b64 v[0:1], 2, v[0:1]
	v_div_scale_f32 v4, s[0:1], v3, v3, v2
	v_div_scale_f32 v5, vcc, v2, v3, v2
	v_rcp_f32_e32 v6, v4
	v_fma_f32 v7, -v4, v6, 1.0
	v_fmac_f32_e32 v6, v7, v6
	v_mul_f32_e32 v7, v5, v6
	v_fma_f32 v8, -v4, v7, v5
	v_fmac_f32_e32 v7, v8, v6
	v_fma_f32 v4, -v4, v7, v5
	v_div_fmas_f32 v4, v4, v6, v7
	v_mov_b32_e32 v5, 0
	ds_read_b32 v5, v5 offset:4
	v_mov_b32_e32 v6, s9
	v_add_co_u32_e32 v0, vcc, s8, v0
	v_addc_co_u32_e32 v1, vcc, v6, v1, vcc
	v_div_fixup_f32 v2, v4, v3, v2
	s_waitcnt lgkmcnt(0)
	v_add_f32_e32 v2, v2, v5
	global_store_dword v[0:1], v2, off
.LBB2_17:
	s_endpgm
	.section	.rodata,"a",@progbits
	.p2align	6, 0x0
	.amdhsa_kernel _Z24kernel_normalize_weightsPfPKfS_S_Pii
		.amdhsa_group_segment_fixed_size 8
		.amdhsa_private_segment_fixed_size 0
		.amdhsa_kernarg_size 304
		.amdhsa_user_sgpr_count 6
		.amdhsa_user_sgpr_private_segment_buffer 1
		.amdhsa_user_sgpr_dispatch_ptr 0
		.amdhsa_user_sgpr_queue_ptr 0
		.amdhsa_user_sgpr_kernarg_segment_ptr 1
		.amdhsa_user_sgpr_dispatch_id 0
		.amdhsa_user_sgpr_flat_scratch_init 0
		.amdhsa_user_sgpr_private_segment_size 0
		.amdhsa_uses_dynamic_stack 0
		.amdhsa_system_sgpr_private_segment_wavefront_offset 0
		.amdhsa_system_sgpr_workgroup_id_x 1
		.amdhsa_system_sgpr_workgroup_id_y 0
		.amdhsa_system_sgpr_workgroup_id_z 0
		.amdhsa_system_sgpr_workgroup_info 0
		.amdhsa_system_vgpr_workitem_id 0
		.amdhsa_next_free_vgpr 13
		.amdhsa_next_free_sgpr 22
		.amdhsa_reserve_vcc 1
		.amdhsa_reserve_flat_scratch 0
		.amdhsa_float_round_mode_32 0
		.amdhsa_float_round_mode_16_64 0
		.amdhsa_float_denorm_mode_32 3
		.amdhsa_float_denorm_mode_16_64 3
		.amdhsa_dx10_clamp 1
		.amdhsa_ieee_mode 1
		.amdhsa_fp16_overflow 0
		.amdhsa_exception_fp_ieee_invalid_op 0
		.amdhsa_exception_fp_denorm_src 0
		.amdhsa_exception_fp_ieee_div_zero 0
		.amdhsa_exception_fp_ieee_overflow 0
		.amdhsa_exception_fp_ieee_underflow 0
		.amdhsa_exception_fp_ieee_inexact 0
		.amdhsa_exception_int_div_zero 0
	.end_amdhsa_kernel
	.text
.Lfunc_end2:
	.size	_Z24kernel_normalize_weightsPfPKfS_S_Pii, .Lfunc_end2-_Z24kernel_normalize_weightsPfPKfS_S_Pii
                                        ; -- End function
	.set _Z24kernel_normalize_weightsPfPKfS_S_Pii.num_vgpr, 13
	.set _Z24kernel_normalize_weightsPfPKfS_S_Pii.num_agpr, 0
	.set _Z24kernel_normalize_weightsPfPKfS_S_Pii.numbered_sgpr, 22
	.set _Z24kernel_normalize_weightsPfPKfS_S_Pii.num_named_barrier, 0
	.set _Z24kernel_normalize_weightsPfPKfS_S_Pii.private_seg_size, 0
	.set _Z24kernel_normalize_weightsPfPKfS_S_Pii.uses_vcc, 1
	.set _Z24kernel_normalize_weightsPfPKfS_S_Pii.uses_flat_scratch, 0
	.set _Z24kernel_normalize_weightsPfPKfS_S_Pii.has_dyn_sized_stack, 0
	.set _Z24kernel_normalize_weightsPfPKfS_S_Pii.has_recursion, 0
	.set _Z24kernel_normalize_weightsPfPKfS_S_Pii.has_indirect_call, 0
	.section	.AMDGPU.csdata,"",@progbits
; Kernel info:
; codeLenInByte = 1868
; TotalNumSgprs: 26
; NumVgprs: 13
; ScratchSize: 0
; MemoryBound: 0
; FloatMode: 240
; IeeeMode: 1
; LDSByteSize: 8 bytes/workgroup (compile time only)
; SGPRBlocks: 3
; VGPRBlocks: 3
; NumSGPRsForWavesPerEU: 26
; NumVGPRsForWavesPerEU: 13
; Occupancy: 10
; WaveLimiterHint : 0
; COMPUTE_PGM_RSRC2:SCRATCH_EN: 0
; COMPUTE_PGM_RSRC2:USER_SGPR: 6
; COMPUTE_PGM_RSRC2:TRAP_HANDLER: 0
; COMPUTE_PGM_RSRC2:TGID_X_EN: 1
; COMPUTE_PGM_RSRC2:TGID_Y_EN: 0
; COMPUTE_PGM_RSRC2:TGID_Z_EN: 0
; COMPUTE_PGM_RSRC2:TIDIG_COMP_CNT: 0
	.text
	.protected	_Z10kernel_sumPfi       ; -- Begin function _Z10kernel_sumPfi
	.globl	_Z10kernel_sumPfi
	.p2align	8
	.type	_Z10kernel_sumPfi,@function
_Z10kernel_sumPfi:                      ; @_Z10kernel_sumPfi
; %bb.0:
	s_load_dword s2, s[4:5], 0x8
	s_load_dwordx2 s[0:1], s[4:5], 0x0
	s_waitcnt lgkmcnt(0)
	s_cmp_lt_i32 s2, 1
	s_cbranch_scc1 .LBB3_4
; %bb.1:
	s_addk_i32 s2, 0xff
	s_lshr_b32 s4, s2, 8
	v_mov_b32_e32 v0, 0
	s_mov_b64 s[2:3], s[0:1]
.LBB3_2:                                ; =>This Inner Loop Header: Depth=1
	s_load_dword s5, s[2:3], 0x0
	s_add_i32 s4, s4, -1
	s_add_u32 s2, s2, 4
	s_addc_u32 s3, s3, 0
	s_cmp_lg_u32 s4, 0
	s_waitcnt lgkmcnt(0)
	v_add_f32_e32 v0, s5, v0
	s_cbranch_scc1 .LBB3_2
; %bb.3:
	v_mov_b32_e32 v1, 0
	global_store_dword v1, v0, s[0:1]
	s_endpgm
.LBB3_4:
	v_mov_b32_e32 v0, 0
	v_mov_b32_e32 v1, 0
	global_store_dword v1, v0, s[0:1]
	s_endpgm
	.section	.rodata,"a",@progbits
	.p2align	6, 0x0
	.amdhsa_kernel _Z10kernel_sumPfi
		.amdhsa_group_segment_fixed_size 0
		.amdhsa_private_segment_fixed_size 0
		.amdhsa_kernarg_size 12
		.amdhsa_user_sgpr_count 6
		.amdhsa_user_sgpr_private_segment_buffer 1
		.amdhsa_user_sgpr_dispatch_ptr 0
		.amdhsa_user_sgpr_queue_ptr 0
		.amdhsa_user_sgpr_kernarg_segment_ptr 1
		.amdhsa_user_sgpr_dispatch_id 0
		.amdhsa_user_sgpr_flat_scratch_init 0
		.amdhsa_user_sgpr_private_segment_size 0
		.amdhsa_uses_dynamic_stack 0
		.amdhsa_system_sgpr_private_segment_wavefront_offset 0
		.amdhsa_system_sgpr_workgroup_id_x 1
		.amdhsa_system_sgpr_workgroup_id_y 0
		.amdhsa_system_sgpr_workgroup_id_z 0
		.amdhsa_system_sgpr_workgroup_info 0
		.amdhsa_system_vgpr_workitem_id 0
		.amdhsa_next_free_vgpr 2
		.amdhsa_next_free_sgpr 6
		.amdhsa_reserve_vcc 0
		.amdhsa_reserve_flat_scratch 0
		.amdhsa_float_round_mode_32 0
		.amdhsa_float_round_mode_16_64 0
		.amdhsa_float_denorm_mode_32 3
		.amdhsa_float_denorm_mode_16_64 3
		.amdhsa_dx10_clamp 1
		.amdhsa_ieee_mode 1
		.amdhsa_fp16_overflow 0
		.amdhsa_exception_fp_ieee_invalid_op 0
		.amdhsa_exception_fp_denorm_src 0
		.amdhsa_exception_fp_ieee_div_zero 0
		.amdhsa_exception_fp_ieee_overflow 0
		.amdhsa_exception_fp_ieee_underflow 0
		.amdhsa_exception_fp_ieee_inexact 0
		.amdhsa_exception_int_div_zero 0
	.end_amdhsa_kernel
	.text
.Lfunc_end3:
	.size	_Z10kernel_sumPfi, .Lfunc_end3-_Z10kernel_sumPfi
                                        ; -- End function
	.set _Z10kernel_sumPfi.num_vgpr, 2
	.set _Z10kernel_sumPfi.num_agpr, 0
	.set _Z10kernel_sumPfi.numbered_sgpr, 6
	.set _Z10kernel_sumPfi.num_named_barrier, 0
	.set _Z10kernel_sumPfi.private_seg_size, 0
	.set _Z10kernel_sumPfi.uses_vcc, 0
	.set _Z10kernel_sumPfi.uses_flat_scratch, 0
	.set _Z10kernel_sumPfi.has_dyn_sized_stack, 0
	.set _Z10kernel_sumPfi.has_recursion, 0
	.set _Z10kernel_sumPfi.has_indirect_call, 0
	.section	.AMDGPU.csdata,"",@progbits
; Kernel info:
; codeLenInByte = 116
; TotalNumSgprs: 10
; NumVgprs: 2
; ScratchSize: 0
; MemoryBound: 0
; FloatMode: 240
; IeeeMode: 1
; LDSByteSize: 0 bytes/workgroup (compile time only)
; SGPRBlocks: 1
; VGPRBlocks: 0
; NumSGPRsForWavesPerEU: 10
; NumVGPRsForWavesPerEU: 2
; Occupancy: 10
; WaveLimiterHint : 0
; COMPUTE_PGM_RSRC2:SCRATCH_EN: 0
; COMPUTE_PGM_RSRC2:USER_SGPR: 6
; COMPUTE_PGM_RSRC2:TRAP_HANDLER: 0
; COMPUTE_PGM_RSRC2:TGID_X_EN: 1
; COMPUTE_PGM_RSRC2:TGID_Y_EN: 0
; COMPUTE_PGM_RSRC2:TGID_Z_EN: 0
; COMPUTE_PGM_RSRC2:TIDIG_COMP_CNT: 0
	.section	.AMDGPU.gpr_maximums,"",@progbits
	.set amdgpu.max_num_vgpr, 0
	.set amdgpu.max_num_agpr, 0
	.set amdgpu.max_num_sgpr, 0
	.section	.AMDGPU.csdata,"",@progbits
	.type	__hip_cuid_3bac5b1294d8902b,@object ; @__hip_cuid_3bac5b1294d8902b
	.section	.bss,"aw",@nobits
	.globl	__hip_cuid_3bac5b1294d8902b
__hip_cuid_3bac5b1294d8902b:
	.byte	0                               ; 0x0
	.size	__hip_cuid_3bac5b1294d8902b, 1

	.ident	"AMD clang version 22.0.0git (https://github.com/RadeonOpenCompute/llvm-project roc-7.2.4 26084 f58b06dce1f9c15707c5f808fd002e18c2accf7e)"
	.section	".note.GNU-stack","",@progbits
	.addrsig
	.addrsig_sym __hip_cuid_3bac5b1294d8902b
	.amdgpu_metadata
---
amdhsa.kernels:
  - .args:
      - .actual_access:  read_only
        .address_space:  global
        .offset:         0
        .size:           8
        .value_kind:     global_buffer
      - .actual_access:  read_only
        .address_space:  global
        .offset:         8
        .size:           8
        .value_kind:     global_buffer
      - .actual_access:  read_only
        .address_space:  global
        .offset:         16
        .size:           8
        .value_kind:     global_buffer
      - .actual_access:  read_only
        .address_space:  global
        .offset:         24
        .size:           8
        .value_kind:     global_buffer
      - .actual_access:  write_only
        .address_space:  global
        .offset:         32
        .size:           8
        .value_kind:     global_buffer
      - .actual_access:  write_only
        .address_space:  global
        .offset:         40
        .size:           8
        .value_kind:     global_buffer
      - .offset:         48
        .size:           4
        .value_kind:     by_value
      - .offset:         56
        .size:           4
        .value_kind:     hidden_block_count_x
      - .offset:         60
        .size:           4
        .value_kind:     hidden_block_count_y
      - .offset:         64
        .size:           4
        .value_kind:     hidden_block_count_z
      - .offset:         68
        .size:           2
        .value_kind:     hidden_group_size_x
      - .offset:         70
        .size:           2
        .value_kind:     hidden_group_size_y
      - .offset:         72
        .size:           2
        .value_kind:     hidden_group_size_z
      - .offset:         74
        .size:           2
        .value_kind:     hidden_remainder_x
      - .offset:         76
        .size:           2
        .value_kind:     hidden_remainder_y
      - .offset:         78
        .size:           2
        .value_kind:     hidden_remainder_z
      - .offset:         96
        .size:           8
        .value_kind:     hidden_global_offset_x
      - .offset:         104
        .size:           8
        .value_kind:     hidden_global_offset_y
      - .offset:         112
        .size:           8
        .value_kind:     hidden_global_offset_z
      - .offset:         120
        .size:           2
        .value_kind:     hidden_grid_dims
    .group_segment_fixed_size: 0
    .kernarg_segment_align: 8
    .kernarg_segment_size: 312
    .language:       OpenCL C
    .language_version:
      - 2
      - 0
    .max_flat_workgroup_size: 1024
    .name:           _Z17kernel_find_indexPKfS0_S0_S0_PfS1_i
    .private_segment_fixed_size: 0
    .sgpr_count:     24
    .sgpr_spill_count: 0
    .symbol:         _Z17kernel_find_indexPKfS0_S0_S0_PfS1_i.kd
    .uniform_work_group_size: 1
    .uses_dynamic_stack: false
    .vgpr_count:     7
    .vgpr_spill_count: 0
    .wavefront_size: 64
  - .args:
      - .address_space:  global
        .offset:         0
        .size:           8
        .value_kind:     global_buffer
      - .address_space:  global
        .offset:         8
        .size:           8
        .value_kind:     global_buffer
      - .actual_access:  read_only
        .address_space:  global
        .offset:         16
        .size:           8
        .value_kind:     global_buffer
      - .actual_access:  read_only
        .address_space:  global
        .offset:         24
        .size:           8
        .value_kind:     global_buffer
      - .address_space:  global
        .offset:         32
        .size:           8
        .value_kind:     global_buffer
      - .actual_access:  read_only
        .address_space:  global
        .offset:         40
        .size:           8
        .value_kind:     global_buffer
      - .actual_access:  write_only
        .address_space:  global
        .offset:         48
        .size:           8
        .value_kind:     global_buffer
      - .actual_access:  read_only
        .address_space:  global
        .offset:         56
        .size:           8
        .value_kind:     global_buffer
      - .address_space:  global
        .offset:         64
        .size:           8
        .value_kind:     global_buffer
      - .address_space:  global
        .offset:         72
        .size:           8
        .value_kind:     global_buffer
      - .actual_access:  write_only
        .address_space:  global
        .offset:         80
        .size:           8
        .value_kind:     global_buffer
      - .offset:         88
        .size:           4
        .value_kind:     by_value
      - .offset:         92
        .size:           4
        .value_kind:     by_value
      - .offset:         96
        .size:           4
        .value_kind:     by_value
      - .offset:         100
        .size:           4
        .value_kind:     by_value
      - .offset:         104
        .size:           4
        .value_kind:     by_value
      - .offset:         108
        .size:           4
        .value_kind:     by_value
      - .offset:         112
        .size:           4
        .value_kind:     hidden_block_count_x
      - .offset:         116
        .size:           4
        .value_kind:     hidden_block_count_y
      - .offset:         120
        .size:           4
        .value_kind:     hidden_block_count_z
      - .offset:         124
        .size:           2
        .value_kind:     hidden_group_size_x
      - .offset:         126
        .size:           2
        .value_kind:     hidden_group_size_y
      - .offset:         128
        .size:           2
        .value_kind:     hidden_group_size_z
      - .offset:         130
        .size:           2
        .value_kind:     hidden_remainder_x
      - .offset:         132
        .size:           2
        .value_kind:     hidden_remainder_y
      - .offset:         134
        .size:           2
        .value_kind:     hidden_remainder_z
      - .offset:         152
        .size:           8
        .value_kind:     hidden_global_offset_x
      - .offset:         160
        .size:           8
        .value_kind:     hidden_global_offset_y
      - .offset:         168
        .size:           8
        .value_kind:     hidden_global_offset_z
      - .offset:         176
        .size:           2
        .value_kind:     hidden_grid_dims
    .group_segment_fixed_size: 1024
    .kernarg_segment_align: 8
    .kernarg_segment_size: 368
    .language:       OpenCL C
    .language_version:
      - 2
      - 0
    .max_flat_workgroup_size: 1024
    .name:           _Z17kernel_likelihoodPfS_PKfS1_PiPKiS_PKhS_S2_S_iiiiii
    .private_segment_fixed_size: 0
    .sgpr_count:     42
    .sgpr_spill_count: 0
    .symbol:         _Z17kernel_likelihoodPfS_PKfS1_PiPKiS_PKhS_S2_S_iiiiii.kd
    .uniform_work_group_size: 1
    .uses_dynamic_stack: false
    .vgpr_count:     24
    .vgpr_spill_count: 0
    .wavefront_size: 64
  - .args:
      - .address_space:  global
        .offset:         0
        .size:           8
        .value_kind:     global_buffer
      - .actual_access:  read_only
        .address_space:  global
        .offset:         8
        .size:           8
        .value_kind:     global_buffer
      - .address_space:  global
        .offset:         16
        .size:           8
        .value_kind:     global_buffer
      - .address_space:  global
        .offset:         24
        .size:           8
        .value_kind:     global_buffer
      - .address_space:  global
        .offset:         32
        .size:           8
        .value_kind:     global_buffer
      - .offset:         40
        .size:           4
        .value_kind:     by_value
      - .offset:         48
        .size:           4
        .value_kind:     hidden_block_count_x
      - .offset:         52
        .size:           4
        .value_kind:     hidden_block_count_y
      - .offset:         56
        .size:           4
        .value_kind:     hidden_block_count_z
      - .offset:         60
        .size:           2
        .value_kind:     hidden_group_size_x
      - .offset:         62
        .size:           2
        .value_kind:     hidden_group_size_y
      - .offset:         64
        .size:           2
        .value_kind:     hidden_group_size_z
      - .offset:         66
        .size:           2
        .value_kind:     hidden_remainder_x
      - .offset:         68
        .size:           2
        .value_kind:     hidden_remainder_y
      - .offset:         70
        .size:           2
        .value_kind:     hidden_remainder_z
      - .offset:         88
        .size:           8
        .value_kind:     hidden_global_offset_x
      - .offset:         96
        .size:           8
        .value_kind:     hidden_global_offset_y
      - .offset:         104
        .size:           8
        .value_kind:     hidden_global_offset_z
      - .offset:         112
        .size:           2
        .value_kind:     hidden_grid_dims
    .group_segment_fixed_size: 8
    .kernarg_segment_align: 8
    .kernarg_segment_size: 304
    .language:       OpenCL C
    .language_version:
      - 2
      - 0
    .max_flat_workgroup_size: 1024
    .name:           _Z24kernel_normalize_weightsPfPKfS_S_Pii
    .private_segment_fixed_size: 0
    .sgpr_count:     26
    .sgpr_spill_count: 0
    .symbol:         _Z24kernel_normalize_weightsPfPKfS_S_Pii.kd
    .uniform_work_group_size: 1
    .uses_dynamic_stack: false
    .vgpr_count:     13
    .vgpr_spill_count: 0
    .wavefront_size: 64
  - .args:
      - .address_space:  global
        .offset:         0
        .size:           8
        .value_kind:     global_buffer
      - .offset:         8
        .size:           4
        .value_kind:     by_value
    .group_segment_fixed_size: 0
    .kernarg_segment_align: 8
    .kernarg_segment_size: 12
    .language:       OpenCL C
    .language_version:
      - 2
      - 0
    .max_flat_workgroup_size: 1024
    .name:           _Z10kernel_sumPfi
    .private_segment_fixed_size: 0
    .sgpr_count:     10
    .sgpr_spill_count: 0
    .symbol:         _Z10kernel_sumPfi.kd
    .uniform_work_group_size: 1
    .uses_dynamic_stack: false
    .vgpr_count:     2
    .vgpr_spill_count: 0
    .wavefront_size: 64
amdhsa.target:   amdgcn-amd-amdhsa--gfx906
amdhsa.version:
  - 1
  - 2
...

	.end_amdgpu_metadata
